;; amdgpu-corpus repo=ROCm/rocFFT kind=compiled arch=gfx1030 opt=O3
	.text
	.amdgcn_target "amdgcn-amd-amdhsa--gfx1030"
	.amdhsa_code_object_version 6
	.protected	r2c_even_post_transpose_tile16x16_dp_CI_CP_grid1D ; -- Begin function r2c_even_post_transpose_tile16x16_dp_CI_CP_grid1D
	.globl	r2c_even_post_transpose_tile16x16_dp_CI_CP_grid1D
	.p2align	8
	.type	r2c_even_post_transpose_tile16x16_dp_CI_CP_grid1D,@function
r2c_even_post_transpose_tile16x16_dp_CI_CP_grid1D: ; @r2c_even_post_transpose_tile16x16_dp_CI_CP_grid1D
; %bb.0:
	s_clause 0x1
	s_load_dwordx2 s[0:1], s[4:5], 0x78
	s_load_dwordx2 s[14:15], s[4:5], 0x38
	v_mov_b32_e32 v2, v1
	s_waitcnt lgkmcnt(0)
	s_mul_i32 s7, s1, s0
	v_cvt_f32_u32_e32 v3, s1
	v_cvt_f32_u32_e32 v1, s7
	s_sub_i32 s2, 0, s7
	v_rcp_iflag_f32_e32 v3, v3
	v_rcp_iflag_f32_e32 v1, v1
	v_mul_f32_e32 v1, 0x4f7ffffe, v1
	v_cvt_u32_f32_e32 v1, v1
	v_readfirstlane_b32 s0, v1
	v_mul_f32_e32 v1, 0x4f7ffffe, v3
	s_mul_i32 s2, s2, s0
	v_cvt_u32_f32_e32 v1, v1
	s_mul_hi_u32 s2, s0, s2
	s_add_i32 s0, s0, s2
	s_load_dwordx2 s[2:3], s[4:5], 0x0
	s_mul_hi_u32 s0, s6, s0
	s_load_dwordx4 s[8:11], s[14:15], 0x0
	s_mul_i32 s12, s0, s7
	s_add_i32 s13, s0, 1
	s_sub_i32 s12, s6, s12
	v_readfirstlane_b32 s17, v1
	s_sub_i32 s16, s12, s7
	s_cmp_ge_u32 s12, s7
	s_cselect_b32 s0, s13, s0
	s_cselect_b32 s12, s16, s12
	s_add_i32 s13, s0, 1
	s_cmp_ge_u32 s12, s7
	s_cselect_b32 s16, s13, s0
	s_sub_i32 s0, 0, s1
	s_mul_i32 s12, s16, s7
	s_mul_i32 s0, s0, s17
	s_mul_hi_u32 s13, s17, s0
	s_sub_i32 s0, s6, s12
	s_add_i32 s17, s17, s13
	s_waitcnt lgkmcnt(0)
	s_cmp_eq_u64 s[2:3], 2
	s_mul_hi_u32 s18, s0, s17
	s_mov_b64 s[12:13], s[10:11]
	s_cbranch_scc1 .LBB0_2
; %bb.1:
	s_load_dwordx2 s[12:13], s[14:15], 0x10
	s_waitcnt lgkmcnt(0)
	s_mul_i32 s14, s12, s11
	s_mul_hi_u32 s15, s12, s10
	s_mul_i32 s13, s13, s10
	s_add_i32 s14, s15, s14
	s_mul_i32 s12, s12, s10
	s_add_i32 s13, s14, s13
.LBB0_2:
	s_mul_i32 s14, s18, s1
	v_mov_b32_e32 v3, 0
	s_sub_i32 s0, s0, s14
	s_add_i32 s14, s18, 1
	s_sub_i32 s15, s0, s1
	s_cmp_ge_u32 s0, s1
	s_cselect_b32 s14, s14, s18
	s_cselect_b32 s0, s15, s0
	s_add_i32 s15, s14, 1
	s_cmp_ge_u32 s0, s1
	s_cselect_b32 s0, s15, s14
	s_load_dwordx2 s[14:15], s[4:5], 0x40
	s_lshl_b32 s18, s0, 4
	v_add_co_u32 v13, s0, s18, v2
	v_add_co_ci_u32_e64 v14, null, 0, 0, s0
	v_or_b32_e32 v4, s11, v14
	v_cmp_ne_u64_e32 vcc_lo, 0, v[3:4]
                                        ; implicit-def: $vgpr3_vgpr4
	s_and_saveexec_b32 s0, vcc_lo
	s_xor_b32 s19, exec_lo, s0
	s_cbranch_execz .LBB0_4
; %bb.3:
	v_cvt_f32_u32_e32 v1, s10
	v_cvt_f32_u32_e32 v3, s11
	s_sub_u32 s0, 0, s10
	s_subb_u32 s20, 0, s11
	v_fmamk_f32 v1, v3, 0x4f800000, v1
	v_rcp_f32_e32 v1, v1
	v_mul_f32_e32 v1, 0x5f7ffffc, v1
	v_mul_f32_e32 v3, 0x2f800000, v1
	v_trunc_f32_e32 v3, v3
	v_fmamk_f32 v1, v3, 0xcf800000, v1
	v_cvt_u32_f32_e32 v3, v3
	v_cvt_u32_f32_e32 v1, v1
	v_mul_lo_u32 v4, s0, v3
	v_mul_hi_u32 v5, s0, v1
	v_mul_lo_u32 v6, s20, v1
	v_add_nc_u32_e32 v4, v5, v4
	v_mul_lo_u32 v5, s0, v1
	v_add_nc_u32_e32 v4, v4, v6
	v_mul_hi_u32 v6, v1, v5
	v_mul_lo_u32 v7, v1, v4
	v_mul_hi_u32 v8, v1, v4
	v_mul_hi_u32 v9, v3, v5
	v_mul_lo_u32 v5, v3, v5
	v_mul_hi_u32 v10, v3, v4
	v_mul_lo_u32 v4, v3, v4
	v_add_co_u32 v6, vcc_lo, v6, v7
	v_add_co_ci_u32_e32 v7, vcc_lo, 0, v8, vcc_lo
	v_add_co_u32 v5, vcc_lo, v6, v5
	v_add_co_ci_u32_e32 v5, vcc_lo, v7, v9, vcc_lo
	v_add_co_ci_u32_e32 v6, vcc_lo, 0, v10, vcc_lo
	v_add_co_u32 v4, vcc_lo, v5, v4
	v_add_co_ci_u32_e32 v5, vcc_lo, 0, v6, vcc_lo
	v_add_co_u32 v1, vcc_lo, v1, v4
	v_add_co_ci_u32_e32 v3, vcc_lo, v3, v5, vcc_lo
	v_mul_hi_u32 v4, s0, v1
	v_mul_lo_u32 v6, s20, v1
	v_mul_lo_u32 v5, s0, v3
	v_add_nc_u32_e32 v4, v4, v5
	v_mul_lo_u32 v5, s0, v1
	v_add_nc_u32_e32 v4, v4, v6
	v_mul_hi_u32 v6, v1, v5
	v_mul_lo_u32 v7, v1, v4
	v_mul_hi_u32 v8, v1, v4
	v_mul_hi_u32 v9, v3, v5
	v_mul_lo_u32 v5, v3, v5
	v_mul_hi_u32 v10, v3, v4
	v_mul_lo_u32 v4, v3, v4
	v_add_co_u32 v6, vcc_lo, v6, v7
	v_add_co_ci_u32_e32 v7, vcc_lo, 0, v8, vcc_lo
	v_add_co_u32 v5, vcc_lo, v6, v5
	v_add_co_ci_u32_e32 v5, vcc_lo, v7, v9, vcc_lo
	v_add_co_ci_u32_e32 v6, vcc_lo, 0, v10, vcc_lo
	v_add_co_u32 v4, vcc_lo, v5, v4
	v_add_co_ci_u32_e32 v5, vcc_lo, 0, v6, vcc_lo
	v_add_co_u32 v1, vcc_lo, v1, v4
	v_add_co_ci_u32_e32 v7, vcc_lo, v3, v5, vcc_lo
	v_mul_hi_u32 v9, v13, v1
	v_mad_u64_u32 v[5:6], null, v14, v1, 0
	v_mad_u64_u32 v[3:4], null, v13, v7, 0
	;; [unrolled: 1-line block ×3, first 2 shown]
	v_add_co_u32 v1, vcc_lo, v9, v3
	v_add_co_ci_u32_e32 v3, vcc_lo, 0, v4, vcc_lo
	v_add_co_u32 v1, vcc_lo, v1, v5
	v_add_co_ci_u32_e32 v1, vcc_lo, v3, v6, vcc_lo
	v_add_co_ci_u32_e32 v3, vcc_lo, 0, v8, vcc_lo
	v_add_co_u32 v1, vcc_lo, v1, v7
	v_add_co_ci_u32_e32 v5, vcc_lo, 0, v3, vcc_lo
	v_mul_lo_u32 v6, s11, v1
	v_mad_u64_u32 v[3:4], null, s10, v1, 0
	v_mul_lo_u32 v7, s10, v5
	v_sub_co_u32 v3, vcc_lo, v13, v3
	v_add3_u32 v4, v4, v7, v6
	v_sub_nc_u32_e32 v6, v14, v4
	v_subrev_co_ci_u32_e64 v6, s0, s11, v6, vcc_lo
	v_add_co_u32 v7, s0, v1, 2
	v_add_co_ci_u32_e64 v8, s0, 0, v5, s0
	v_sub_co_u32 v9, s0, v3, s10
	v_sub_co_ci_u32_e32 v4, vcc_lo, v14, v4, vcc_lo
	v_subrev_co_ci_u32_e64 v6, s0, 0, v6, s0
	v_cmp_le_u32_e32 vcc_lo, s10, v9
	v_cmp_eq_u32_e64 s0, s11, v4
	v_cndmask_b32_e64 v9, 0, -1, vcc_lo
	v_cmp_le_u32_e32 vcc_lo, s11, v6
	v_cndmask_b32_e64 v10, 0, -1, vcc_lo
	v_cmp_le_u32_e32 vcc_lo, s10, v3
	;; [unrolled: 2-line block ×3, first 2 shown]
	v_cndmask_b32_e64 v11, 0, -1, vcc_lo
	v_cmp_eq_u32_e32 vcc_lo, s11, v6
	v_cndmask_b32_e64 v3, v11, v3, s0
	v_cndmask_b32_e32 v6, v10, v9, vcc_lo
	v_add_co_u32 v9, vcc_lo, v1, 1
	v_add_co_ci_u32_e32 v10, vcc_lo, 0, v5, vcc_lo
	v_cmp_ne_u32_e32 vcc_lo, 0, v6
	v_cndmask_b32_e32 v4, v10, v8, vcc_lo
	v_cndmask_b32_e32 v6, v9, v7, vcc_lo
	v_cmp_ne_u32_e32 vcc_lo, 0, v3
	v_cndmask_b32_e32 v4, v5, v4, vcc_lo
	v_cndmask_b32_e32 v3, v1, v6, vcc_lo
.LBB0_4:
	s_or_saveexec_b32 s19, s19
	s_mul_hi_u32 s0, s6, s17
	s_xor_b32 exec_lo, exec_lo, s19
	s_cbranch_execz .LBB0_6
; %bb.5:
	v_cvt_f32_u32_e32 v1, s10
	s_sub_i32 s17, 0, s10
	v_rcp_iflag_f32_e32 v1, v1
	v_mul_f32_e32 v1, 0x4f7ffffe, v1
	v_cvt_u32_f32_e32 v1, v1
	v_mul_lo_u32 v3, s17, v1
	v_mul_hi_u32 v3, v1, v3
	v_add_nc_u32_e32 v1, v1, v3
	v_mul_hi_u32 v1, v13, v1
	v_mul_lo_u32 v3, v1, s10
	v_add_nc_u32_e32 v4, 1, v1
	v_sub_nc_u32_e32 v3, v13, v3
	v_subrev_nc_u32_e32 v5, s10, v3
	v_cmp_le_u32_e32 vcc_lo, s10, v3
	v_cndmask_b32_e32 v3, v3, v5, vcc_lo
	v_cndmask_b32_e32 v1, v1, v4, vcc_lo
	v_cmp_le_u32_e32 vcc_lo, s10, v3
	v_add_nc_u32_e32 v4, 1, v1
	v_cndmask_b32_e32 v3, v1, v4, vcc_lo
	v_mov_b32_e32 v4, 0
.LBB0_6:
	s_or_b32 exec_lo, exec_lo, s19
	s_waitcnt lgkmcnt(0)
	s_load_dwordx2 s[20:21], s[14:15], 0x8
	v_mul_lo_u32 v1, v4, s10
	v_mul_lo_u32 v7, v3, s11
	v_mad_u64_u32 v[5:6], null, v3, s10, 0
	s_load_dwordx2 s[22:23], s[4:5], 0x8
	v_cmp_lt_u64_e64 s10, s[2:3], 3
	v_add3_u32 v1, v6, v7, v1
	v_sub_co_u32 v5, vcc_lo, v13, v5
	v_sub_co_ci_u32_e32 v1, vcc_lo, v14, v1, vcc_lo
	s_and_b32 vcc_lo, exec_lo, s10
	s_waitcnt lgkmcnt(0)
	v_mul_lo_u32 v6, s21, v5
	v_mul_lo_u32 v1, s20, v1
	v_mad_u64_u32 v[9:10], null, s20, v5, 0
	v_add3_u32 v10, v10, v1, v6
	s_cbranch_vccnz .LBB0_8
; %bb.7:
	s_load_dwordx2 s[10:11], s[14:15], 0x10
	s_waitcnt lgkmcnt(0)
	v_mad_u64_u32 v[9:10], null, s10, v3, v[9:10]
	v_mul_lo_u32 v1, s10, v4
	v_mul_lo_u32 v3, s11, v3
	v_add3_u32 v10, v3, v10, v1
.LBB0_8:
	s_add_u32 s10, s8, -1
	s_addc_u32 s11, s9, -1
	s_mul_i32 s0, s0, s1
	v_cmp_lt_u64_e64 s14, s[10:11], 32
	s_lshr_b64 s[10:11], s[10:11], 1
	v_mov_b32_e32 v1, 0
	v_lshlrev_b32_e32 v11, 4, v2
	s_and_b32 s14, s14, exec_lo
	s_cselect_b32 s14, s11, 0
	s_cselect_b32 s15, s10, 16
	s_mul_i32 s10, s14, s16
	s_mul_hi_u32 s11, s15, s16
	s_mul_i32 s16, s15, s16
	s_add_i32 s17, s11, s10
	s_add_u32 s26, s16, 1
	s_addc_u32 s27, s17, 0
	s_add_u32 s10, s8, 1
	s_addc_u32 s11, s9, 0
	s_lshr_b64 s[20:21], s[10:11], 1
	s_add_u32 s10, s18, 16
	s_addc_u32 s11, 0, 0
	v_cmp_lt_u64_e64 s18, s[10:11], s[12:13]
	s_and_b32 s18, s18, exec_lo
	s_cselect_b32 s11, s11, s13
	s_cselect_b32 s10, s10, s12
	s_add_u32 s12, s26, s15
	s_addc_u32 s13, s27, s14
	s_sub_u32 s24, s20, s26
	v_cmp_lt_u64_e64 s18, s[12:13], s[20:21]
	s_load_dwordx2 s[12:13], s[4:5], 0x10
	s_subb_u32 s19, s21, s27
	s_and_b32 s18, s18, exec_lo
	s_cselect_b32 s19, s14, s19
	s_cselect_b32 s18, s15, s24
	s_sub_i32 s0, s6, s0
	v_cmp_gt_u64_e32 vcc_lo, s[18:19], v[0:1]
	s_sub_i32 s14, s0, s1
	s_cmp_ge_u32 s0, s1
	s_cselect_b32 s14, s14, s0
	v_cmp_gt_u64_e64 s0, s[10:11], v[13:14]
	s_sub_i32 s10, s14, s1
	s_cmp_ge_u32 s14, s1
	s_cselect_b32 s29, s10, s14
	s_waitcnt lgkmcnt(0)
	s_mul_i32 s1, s29, s13
	s_mul_hi_u32 s10, s29, s12
	s_mul_i32 s24, s29, s12
	s_add_i32 s25, s10, s1
	s_and_b32 s28, s0, vcc_lo
	s_and_saveexec_b32 s1, s28
	s_cbranch_execz .LBB0_10
; %bb.9:
	v_lshlrev_b64 v[2:3], 4, v[9:10]
	s_lshl_b64 s[10:11], s[24:25], 4
	v_lshl_add_u32 v12, v0, 8, v11
	s_add_u32 s10, s10, s22
	s_addc_u32 s11, s11, s23
	v_add_co_u32 v4, vcc_lo, s10, v2
	v_add_co_ci_u32_e32 v3, vcc_lo, s11, v3, vcc_lo
	s_lshl_b64 s[10:11], s[16:17], 4
	v_lshlrev_b64 v[1:2], 4, v[0:1]
	v_add_co_u32 v5, vcc_lo, v4, s10
	s_add_u32 s10, s16, s18
	v_add_co_ci_u32_e32 v6, vcc_lo, s11, v3, vcc_lo
	s_addc_u32 s11, s17, s19
	s_sub_u32 s10, s8, s10
	s_subb_u32 s11, s9, s11
	s_lshl_b64 s[10:11], s[10:11], 4
	v_add_co_u32 v7, vcc_lo, v4, s10
	v_add_co_ci_u32_e32 v8, vcc_lo, s11, v3, vcc_lo
	v_add_co_u32 v3, vcc_lo, v5, v1
	v_add_co_ci_u32_e32 v4, vcc_lo, v6, v2, vcc_lo
	;; [unrolled: 2-line block ×3, first 2 shown]
	s_clause 0x1
	global_load_dwordx4 v[1:4], v[3:4], off offset:16
	global_load_dwordx4 v[5:8], v[5:6], off
	s_waitcnt vmcnt(1)
	ds_write_b128 v12, v[1:4]
	s_waitcnt vmcnt(0)
	ds_write_b128 v12, v[5:8] offset:4096
.LBB0_10:
	s_or_b32 exec_lo, exec_lo, s1
	s_clause 0x1
	s_load_dwordx2 s[10:11], s[4:5], 0x48
	s_load_dwordx4 s[12:15], s[4:5], 0x18
	v_cmp_eq_u32_e64 s1, 0, v0
	s_cmp_gt_u32 s7, s6
                                        ; implicit-def: $vgpr1_vgpr2
                                        ; implicit-def: $vgpr5_vgpr6
	s_cselect_b32 s19, -1, 0
	s_and_b32 s7, s1, s19
	s_and_saveexec_b32 s6, s7
	s_cbranch_execz .LBB0_16
; %bb.11:
                                        ; implicit-def: $vgpr7_vgpr8
                                        ; implicit-def: $vgpr3_vgpr4
	s_and_saveexec_b32 s7, s0
	s_cbranch_execz .LBB0_15
; %bb.12:
	v_lshlrev_b64 v[1:2], 4, v[9:10]
	s_lshl_b64 s[24:25], s[24:25], 4
	s_add_u32 s22, s24, s22
	s_addc_u32 s23, s25, s23
	s_bitcmp1_b32 s8, 0
	v_add_co_u32 v1, vcc_lo, s22, v1
	v_add_co_ci_u32_e32 v2, vcc_lo, s23, v2, vcc_lo
	s_cselect_b32 s22, -1, 0
	s_and_b32 vcc_lo, exec_lo, s22
	global_load_dwordx4 v[5:8], v[1:2], off
	s_cbranch_vccnz .LBB0_14
; %bb.13:
	s_lshl_b64 s[22:23], s[8:9], 3
	v_add_co_u32 v1, vcc_lo, v1, s22
	v_add_co_ci_u32_e32 v2, vcc_lo, s23, v2, vcc_lo
	global_load_dwordx4 v[1:4], v[1:2], off
	s_branch .LBB0_15
.LBB0_14:
                                        ; implicit-def: $vgpr3_vgpr4
.LBB0_15:
	s_or_b32 exec_lo, exec_lo, s7
.LBB0_16:
	s_or_b32 exec_lo, exec_lo, s6
	s_load_dwordx4 s[4:7], s[4:5], 0x28
	s_and_b32 s22, s1, s0
	s_waitcnt vmcnt(0) lgkmcnt(0)
	s_barrier
	buffer_gl0_inv
	s_mul_i32 s1, s29, s5
	s_mul_hi_u32 s5, s29, s4
	s_mul_i32 s0, s29, s4
	s_add_i32 s1, s5, s1
	s_and_b32 s4, s19, s22
	s_and_saveexec_b32 s19, s4
	s_cbranch_execz .LBB0_35
; %bb.17:
	v_cmp_lt_i64_e64 s4, s[2:3], 3
	s_and_b32 vcc_lo, exec_lo, s4
	s_cbranch_vccnz .LBB0_21
; %bb.18:
	s_mov_b32 s25, 0
	s_cmp_eq_u64 s[2:3], 3
	s_mov_b32 s24, 0
                                        ; implicit-def: $sgpr4_sgpr5
	s_cbranch_scc0 .LBB0_20
; %bb.19:
	s_mov_b32 s24, -1
	s_mov_b64 s[4:5], 16
.LBB0_20:
	s_mov_b64 s[22:23], 0
	s_and_b32 vcc_lo, exec_lo, s25
	s_cbranch_vccnz .LBB0_22
	s_branch .LBB0_23
.LBB0_21:
	s_mov_b32 s24, 0
                                        ; implicit-def: $sgpr4_sgpr5
                                        ; implicit-def: $sgpr22_sgpr23
	s_cbranch_execz .LBB0_23
.LBB0_22:
	s_cmp_eq_u64 s[2:3], 2
	s_mov_b64 s[22:23], 0
	s_mov_b64 s[4:5], 8
	s_cselect_b32 s24, -1, 0
.LBB0_23:
	s_andn2_b32 vcc_lo, exec_lo, s24
	s_cbranch_vccnz .LBB0_25
; %bb.24:
	s_add_u32 s4, s10, s4
	s_addc_u32 s5, s11, s5
	s_load_dwordx2 s[4:5], s[4:5], 0x0
	s_waitcnt lgkmcnt(0)
	s_mul_i32 s22, s4, s9
	s_mul_hi_u32 s23, s4, s8
	s_mul_i32 s5, s5, s8
	s_add_i32 s22, s23, s22
	s_mul_i32 s4, s4, s8
	s_add_i32 s5, s22, s5
	s_add_u32 s22, s4, s0
	s_addc_u32 s23, s5, s1
.LBB0_25:
	v_add_co_u32 v9, vcc_lo, v13, s22
	v_add_co_ci_u32_e32 v10, vcc_lo, s23, v14, vcc_lo
	v_add_f64 v[15:16], v[5:6], -v[7:8]
	s_and_b32 s4, s2, -2
	s_mov_b32 s5, s3
	v_lshlrev_b64 v[9:10], 3, v[9:10]
	s_cmp_eq_u64 s[4:5], 2
	v_add_f64 v[5:6], v[5:6], v[7:8]
	s_cselect_b32 s5, s0, 0
	s_cselect_b32 s4, s1, 0
	s_bitcmp1_b32 s8, 0
	v_add_co_u32 v17, vcc_lo, s12, v9
	v_add_co_ci_u32_e32 v18, vcc_lo, s13, v10, vcc_lo
	v_add_co_u32 v7, vcc_lo, v13, s5
	v_add_co_ci_u32_e32 v8, vcc_lo, s4, v14, vcc_lo
	;; [unrolled: 2-line block ×3, first 2 shown]
	v_lshlrev_b64 v[7:8], 3, v[7:8]
	s_mov_b32 s4, 0
	global_store_dwordx2 v[17:18], v[15:16], off
	s_mov_b32 s5, s4
	v_mov_b32_e32 v16, s5
	v_add_co_u32 v17, vcc_lo, s12, v7
	v_add_co_ci_u32_e32 v18, vcc_lo, s13, v8, vcc_lo
	v_add_co_u32 v7, vcc_lo, s14, v7
	v_mov_b32_e32 v15, s4
	v_add_co_ci_u32_e32 v8, vcc_lo, s15, v8, vcc_lo
	s_cselect_b32 s5, -1, 0
	global_store_dwordx2 v[17:18], v[5:6], off
	s_and_b32 vcc_lo, exec_lo, s5
	global_store_dwordx2 v[9:10], v[15:16], off
	global_store_dwordx2 v[7:8], v[15:16], off
	s_cbranch_vccnz .LBB0_35
; %bb.26:
	v_cmp_lt_i64_e64 s5, s[2:3], 3
	s_and_b32 vcc_lo, exec_lo, s5
	s_cbranch_vccnz .LBB0_30
; %bb.27:
	s_mov_b32 s5, 0
	s_cmp_eq_u64 s[2:3], 3
                                        ; implicit-def: $sgpr24_sgpr25
	s_cbranch_scc0 .LBB0_29
; %bb.28:
	s_mov_b32 s4, -1
	s_mov_b64 s[24:25], 16
.LBB0_29:
	s_mov_b64 s[22:23], 0
	s_and_b32 vcc_lo, exec_lo, s5
	s_cbranch_vccnz .LBB0_31
	s_branch .LBB0_32
.LBB0_30:
                                        ; implicit-def: $sgpr24_sgpr25
                                        ; implicit-def: $sgpr22_sgpr23
	s_cbranch_execz .LBB0_32
.LBB0_31:
	s_cmp_eq_u64 s[2:3], 2
	s_mov_b64 s[22:23], 0
	s_mov_b64 s[24:25], 8
	s_cselect_b32 s4, -1, 0
.LBB0_32:
	s_andn2_b32 vcc_lo, exec_lo, s4
	s_cbranch_vccnz .LBB0_34
; %bb.33:
	s_add_u32 s4, s10, s24
	s_addc_u32 s5, s11, s25
	s_load_dwordx2 s[4:5], s[4:5], 0x0
	s_waitcnt lgkmcnt(0)
	s_mul_i32 s21, s4, s21
	s_mul_hi_u32 s22, s4, s20
	s_mul_i32 s5, s5, s20
	s_add_i32 s21, s22, s21
	s_mul_i32 s4, s4, s20
	s_add_i32 s21, s21, s5
	s_add_u32 s22, s4, s0
	s_addc_u32 s23, s21, s1
.LBB0_34:
	v_add_co_u32 v5, vcc_lo, v13, s22
	v_add_co_ci_u32_e32 v6, vcc_lo, s23, v14, vcc_lo
	v_xor_b32_e32 v4, 0x80000000, v4
	v_lshlrev_b64 v[5:6], 3, v[5:6]
	v_add_co_u32 v7, vcc_lo, s12, v5
	v_add_co_ci_u32_e32 v8, vcc_lo, s13, v6, vcc_lo
	v_add_co_u32 v5, vcc_lo, s14, v5
	v_add_co_ci_u32_e32 v6, vcc_lo, s15, v6, vcc_lo
	global_store_dwordx2 v[7:8], v[1:2], off
	global_store_dwordx2 v[5:6], v[3:4], off
.LBB0_35:
	s_or_b32 exec_lo, exec_lo, s19
	s_and_saveexec_b32 s4, s28
	s_cbranch_execz .LBB0_53
; %bb.36:
	v_add_co_u32 v1, s4, s16, v0
	v_add_co_ci_u32_e64 v2, null, s17, 0, s4
	v_xad_u32 v5, v0, -1, s18
	v_lshl_add_u32 v6, v0, 8, v11
	v_cmp_lt_i64_e64 s4, s[2:3], 3
	v_lshlrev_b64 v[1:2], 4, v[1:2]
	s_mov_b32 s17, -1
	v_lshl_add_u32 v9, v5, 8, v11
	v_add_co_u32 v1, vcc_lo, s6, v1
	v_add_co_ci_u32_e32 v2, vcc_lo, s7, v2, vcc_lo
	s_and_b32 vcc_lo, exec_lo, s4
	global_load_dwordx4 v[1:4], v[1:2], off offset:16
	ds_read_b128 v[5:8], v6
	ds_read_b128 v[9:12], v9 offset:4096
	s_cbranch_vccnz .LBB0_40
; %bb.37:
	s_mov_b32 s17, 0
	s_cmp_eq_u64 s[2:3], 3
	s_mov_b32 s16, 0
                                        ; implicit-def: $sgpr4_sgpr5
	s_cbranch_scc0 .LBB0_39
; %bb.38:
	s_mov_b32 s16, -1
	s_mov_b64 s[4:5], 16
.LBB0_39:
	s_mov_b64 s[6:7], 0
	v_add_co_u32 v17, s18, s26, v0
	v_add_co_ci_u32_e64 v18, null, s27, 0, s18
	s_and_b32 vcc_lo, exec_lo, s17
	s_cbranch_vccnz .LBB0_41
	s_branch .LBB0_42
.LBB0_40:
	s_mov_b32 s16, 0
                                        ; implicit-def: $sgpr4_sgpr5
                                        ; implicit-def: $sgpr6_sgpr7
	v_add_co_u32 v17, s18, s26, v0
	v_add_co_ci_u32_e64 v18, null, s27, 0, s18
	s_and_b32 vcc_lo, exec_lo, s17
	s_cbranch_vccz .LBB0_42
.LBB0_41:
	s_cmp_eq_u64 s[2:3], 2
	s_mov_b64 s[6:7], 0
	s_mov_b64 s[4:5], 8
	s_cselect_b32 s16, -1, 0
.LBB0_42:
	v_mov_b32_e32 v16, s7
	v_mov_b32_e32 v15, s6
	s_andn2_b32 vcc_lo, exec_lo, s16
	s_cbranch_vccnz .LBB0_44
; %bb.43:
	s_add_u32 s4, s10, s4
	s_addc_u32 s5, s11, s5
	s_load_dwordx2 s[4:5], s[4:5], 0x0
	s_waitcnt lgkmcnt(0)
	v_mul_lo_u32 v0, s4, v18
	v_mul_lo_u32 v19, s5, v17
	v_mad_u64_u32 v[15:16], null, s4, v17, s[0:1]
	v_add3_u32 v16, v19, v16, v0
.LBB0_44:
	s_waitcnt lgkmcnt(0)
	v_add_f64 v[19:20], v[5:6], -v[9:10]
	v_add_f64 v[21:22], v[7:8], v[11:12]
	v_add_f64 v[9:10], v[5:6], v[9:10]
	v_add_f64 v[7:8], v[7:8], -v[11:12]
	v_add_co_u32 v15, vcc_lo, v13, v15
	v_add_co_ci_u32_e32 v16, vcc_lo, v14, v16, vcc_lo
	v_cmp_lt_i64_e64 s4, s[2:3], 3
	v_lshlrev_b64 v[15:16], 3, v[15:16]
	v_mul_f64 v[19:20], v[19:20], 0.5
	v_mul_f64 v[21:22], v[21:22], 0.5
	;; [unrolled: 1-line block ×3, first 2 shown]
	s_waitcnt vmcnt(0)
	v_mul_f64 v[5:6], v[19:20], v[3:4]
	v_mul_f64 v[3:4], v[21:22], v[3:4]
	v_fma_f64 v[23:24], v[9:10], 0.5, v[5:6]
	v_fma_f64 v[25:26], v[7:8], 0.5, v[3:4]
	v_mul_f64 v[7:8], v[7:8], 0.5
	v_mul_f64 v[9:10], v[1:2], v[21:22]
	v_fma_f64 v[21:22], v[1:2], v[21:22], v[23:24]
	v_fma_f64 v[23:24], -v[19:20], v[1:2], v[25:26]
	v_mul_f64 v[0:1], v[19:20], v[1:2]
	v_add_co_u32 v19, vcc_lo, s12, v15
	v_add_co_ci_u32_e32 v20, vcc_lo, s13, v16, vcc_lo
	v_add_co_u32 v15, vcc_lo, s14, v15
	v_add_co_ci_u32_e32 v16, vcc_lo, s15, v16, vcc_lo
	s_and_b32 vcc_lo, exec_lo, s4
	global_store_dwordx2 v[19:20], v[21:22], off
	global_store_dwordx2 v[15:16], v[23:24], off
	s_cbranch_vccnz .LBB0_48
; %bb.45:
	s_mov_b32 s17, 0
	s_cmp_eq_u64 s[2:3], 3
	s_mov_b32 s16, 0
                                        ; implicit-def: $sgpr4_sgpr5
	s_cbranch_scc0 .LBB0_47
; %bb.46:
	s_mov_b32 s16, -1
	s_mov_b64 s[4:5], 16
.LBB0_47:
	s_mov_b64 s[6:7], 0
	s_and_b32 vcc_lo, exec_lo, s17
	s_cbranch_vccnz .LBB0_49
	s_branch .LBB0_50
.LBB0_48:
	s_mov_b32 s16, 0
                                        ; implicit-def: $sgpr4_sgpr5
                                        ; implicit-def: $sgpr6_sgpr7
	s_cbranch_execz .LBB0_50
.LBB0_49:
	s_cmp_eq_u64 s[2:3], 2
	s_mov_b64 s[6:7], 0
	s_mov_b64 s[4:5], 8
	s_cselect_b32 s16, -1, 0
.LBB0_50:
	v_mov_b32_e32 v16, s7
	v_mov_b32_e32 v15, s6
	s_andn2_b32 vcc_lo, exec_lo, s16
	s_cbranch_vccnz .LBB0_52
; %bb.51:
	s_add_u32 s2, s10, s4
	s_addc_u32 s3, s11, s5
	v_sub_co_u32 v2, vcc_lo, s8, v17
	s_load_dwordx2 s[2:3], s[2:3], 0x0
	v_sub_co_ci_u32_e32 v15, vcc_lo, s9, v18, vcc_lo
	s_waitcnt lgkmcnt(0)
	v_mul_lo_u32 v17, s2, v15
	v_mul_lo_u32 v18, s3, v2
	v_mad_u64_u32 v[15:16], null, s2, v2, s[0:1]
	v_add3_u32 v16, v18, v16, v17
.LBB0_52:
	v_add_f64 v[5:6], v[11:12], -v[5:6]
	v_add_f64 v[2:3], v[3:4], -v[7:8]
	;; [unrolled: 1-line block ×4, first 2 shown]
	v_add_co_u32 v2, vcc_lo, v13, v15
	v_add_co_ci_u32_e32 v3, vcc_lo, v14, v16, vcc_lo
	v_lshlrev_b64 v[2:3], 3, v[2:3]
	v_add_co_u32 v6, vcc_lo, s12, v2
	v_add_co_ci_u32_e32 v7, vcc_lo, s13, v3, vcc_lo
	v_add_co_u32 v2, vcc_lo, s14, v2
	v_add_co_ci_u32_e32 v3, vcc_lo, s15, v3, vcc_lo
	global_store_dwordx2 v[6:7], v[4:5], off
	global_store_dwordx2 v[2:3], v[0:1], off
.LBB0_53:
	s_endpgm
	.section	.rodata,"a",@progbits
	.p2align	6, 0x0
	.amdhsa_kernel r2c_even_post_transpose_tile16x16_dp_CI_CP_grid1D
		.amdhsa_group_segment_fixed_size 8192
		.amdhsa_private_segment_fixed_size 0
		.amdhsa_kernarg_size 128
		.amdhsa_user_sgpr_count 6
		.amdhsa_user_sgpr_private_segment_buffer 1
		.amdhsa_user_sgpr_dispatch_ptr 0
		.amdhsa_user_sgpr_queue_ptr 0
		.amdhsa_user_sgpr_kernarg_segment_ptr 1
		.amdhsa_user_sgpr_dispatch_id 0
		.amdhsa_user_sgpr_flat_scratch_init 0
		.amdhsa_user_sgpr_private_segment_size 0
		.amdhsa_wavefront_size32 1
		.amdhsa_uses_dynamic_stack 0
		.amdhsa_system_sgpr_private_segment_wavefront_offset 0
		.amdhsa_system_sgpr_workgroup_id_x 1
		.amdhsa_system_sgpr_workgroup_id_y 0
		.amdhsa_system_sgpr_workgroup_id_z 0
		.amdhsa_system_sgpr_workgroup_info 0
		.amdhsa_system_vgpr_workitem_id 1
		.amdhsa_next_free_vgpr 27
		.amdhsa_next_free_sgpr 30
		.amdhsa_reserve_vcc 1
		.amdhsa_reserve_flat_scratch 0
		.amdhsa_float_round_mode_32 0
		.amdhsa_float_round_mode_16_64 0
		.amdhsa_float_denorm_mode_32 3
		.amdhsa_float_denorm_mode_16_64 3
		.amdhsa_dx10_clamp 1
		.amdhsa_ieee_mode 1
		.amdhsa_fp16_overflow 0
		.amdhsa_workgroup_processor_mode 1
		.amdhsa_memory_ordered 1
		.amdhsa_forward_progress 0
		.amdhsa_shared_vgpr_count 0
		.amdhsa_exception_fp_ieee_invalid_op 0
		.amdhsa_exception_fp_denorm_src 0
		.amdhsa_exception_fp_ieee_div_zero 0
		.amdhsa_exception_fp_ieee_overflow 0
		.amdhsa_exception_fp_ieee_underflow 0
		.amdhsa_exception_fp_ieee_inexact 0
		.amdhsa_exception_int_div_zero 0
	.end_amdhsa_kernel
	.text
.Lfunc_end0:
	.size	r2c_even_post_transpose_tile16x16_dp_CI_CP_grid1D, .Lfunc_end0-r2c_even_post_transpose_tile16x16_dp_CI_CP_grid1D
                                        ; -- End function
	.section	.AMDGPU.csdata,"",@progbits
; Kernel info:
; codeLenInByte = 3096
; NumSgprs: 32
; NumVgprs: 27
; ScratchSize: 0
; MemoryBound: 1
; FloatMode: 240
; IeeeMode: 1
; LDSByteSize: 8192 bytes/workgroup (compile time only)
; SGPRBlocks: 3
; VGPRBlocks: 3
; NumSGPRsForWavesPerEU: 32
; NumVGPRsForWavesPerEU: 27
; Occupancy: 16
; WaveLimiterHint : 1
; COMPUTE_PGM_RSRC2:SCRATCH_EN: 0
; COMPUTE_PGM_RSRC2:USER_SGPR: 6
; COMPUTE_PGM_RSRC2:TRAP_HANDLER: 0
; COMPUTE_PGM_RSRC2:TGID_X_EN: 1
; COMPUTE_PGM_RSRC2:TGID_Y_EN: 0
; COMPUTE_PGM_RSRC2:TGID_Z_EN: 0
; COMPUTE_PGM_RSRC2:TIDIG_COMP_CNT: 1
	.text
	.p2alignl 6, 3214868480
	.fill 48, 4, 3214868480
	.type	__hip_cuid_b8962755e91549b0,@object ; @__hip_cuid_b8962755e91549b0
	.section	.bss,"aw",@nobits
	.globl	__hip_cuid_b8962755e91549b0
__hip_cuid_b8962755e91549b0:
	.byte	0                               ; 0x0
	.size	__hip_cuid_b8962755e91549b0, 1

	.ident	"AMD clang version 19.0.0git (https://github.com/RadeonOpenCompute/llvm-project roc-6.4.0 25133 c7fe45cf4b819c5991fe208aaa96edf142730f1d)"
	.section	".note.GNU-stack","",@progbits
	.addrsig
	.addrsig_sym __hip_cuid_b8962755e91549b0
	.amdgpu_metadata
---
amdhsa.kernels:
  - .args:
      - .offset:         0
        .size:           8
        .value_kind:     by_value
      - .actual_access:  read_only
        .address_space:  global
        .offset:         8
        .size:           8
        .value_kind:     global_buffer
      - .offset:         16
        .size:           8
        .value_kind:     by_value
      - .actual_access:  write_only
        .address_space:  global
        .offset:         24
        .size:           8
        .value_kind:     global_buffer
      - .actual_access:  write_only
        .address_space:  global
        .offset:         32
        .size:           8
        .value_kind:     global_buffer
      - .offset:         40
        .size:           8
        .value_kind:     by_value
      - .actual_access:  read_only
        .address_space:  global
        .offset:         48
        .size:           8
        .value_kind:     global_buffer
      - .actual_access:  read_only
        .address_space:  global
        .offset:         56
        .size:           8
        .value_kind:     global_buffer
      - .actual_access:  read_only
        .address_space:  global
        .offset:         64
        .size:           8
        .value_kind:     global_buffer
      - .actual_access:  read_only
        .address_space:  global
        .offset:         72
        .size:           8
        .value_kind:     global_buffer
      - .actual_access:  read_only
        .address_space:  global
        .offset:         80
        .size:           8
        .value_kind:     global_buffer
      - .actual_access:  read_only
        .address_space:  global
        .offset:         88
        .size:           8
        .value_kind:     global_buffer
      - .offset:         96
        .size:           4
        .value_kind:     by_value
      - .actual_access:  read_only
        .address_space:  global
        .offset:         104
        .size:           8
        .value_kind:     global_buffer
      - .actual_access:  read_only
        .address_space:  global
        .offset:         112
        .size:           8
        .value_kind:     global_buffer
      - .offset:         120
        .size:           4
        .value_kind:     by_value
      - .offset:         124
        .size:           4
        .value_kind:     by_value
    .group_segment_fixed_size: 8192
    .kernarg_segment_align: 8
    .kernarg_segment_size: 128
    .language:       OpenCL C
    .language_version:
      - 2
      - 0
    .max_flat_workgroup_size: 256
    .name:           r2c_even_post_transpose_tile16x16_dp_CI_CP_grid1D
    .private_segment_fixed_size: 0
    .sgpr_count:     32
    .sgpr_spill_count: 0
    .symbol:         r2c_even_post_transpose_tile16x16_dp_CI_CP_grid1D.kd
    .uniform_work_group_size: 1
    .uses_dynamic_stack: false
    .vgpr_count:     27
    .vgpr_spill_count: 0
    .wavefront_size: 32
    .workgroup_processor_mode: 1
amdhsa.target:   amdgcn-amd-amdhsa--gfx1030
amdhsa.version:
  - 1
  - 2
...

	.end_amdgpu_metadata
